;; amdgpu-corpus repo=zjin-lcf/HeCBench kind=compiled arch=gfx1250 opt=O3
	.amdgcn_target "amdgcn-amd-amdhsa--gfx1250"
	.amdhsa_code_object_version 6
	.section	.text._Z45unrolled_elementwise_kernel_for_multi_outputsILi2EZ4mainEUlffffE_5ArrayIPcLi6EE23TrivialOffsetCalculatorILi4EjES4_ILi2EjEEviT0_T1_T2_T3_,"axG",@progbits,_Z45unrolled_elementwise_kernel_for_multi_outputsILi2EZ4mainEUlffffE_5ArrayIPcLi6EE23TrivialOffsetCalculatorILi4EjES4_ILi2EjEEviT0_T1_T2_T3_,comdat
	.globl	_Z45unrolled_elementwise_kernel_for_multi_outputsILi2EZ4mainEUlffffE_5ArrayIPcLi6EE23TrivialOffsetCalculatorILi4EjES4_ILi2EjEEviT0_T1_T2_T3_ ; -- Begin function _Z45unrolled_elementwise_kernel_for_multi_outputsILi2EZ4mainEUlffffE_5ArrayIPcLi6EE23TrivialOffsetCalculatorILi4EjES4_ILi2EjEEviT0_T1_T2_T3_
	.p2align	8
	.type	_Z45unrolled_elementwise_kernel_for_multi_outputsILi2EZ4mainEUlffffE_5ArrayIPcLi6EE23TrivialOffsetCalculatorILi4EjES4_ILi2EjEEviT0_T1_T2_T3_,@function
_Z45unrolled_elementwise_kernel_for_multi_outputsILi2EZ4mainEUlffffE_5ArrayIPcLi6EE23TrivialOffsetCalculatorILi4EjES4_ILi2EjEEviT0_T1_T2_T3_: ; @_Z45unrolled_elementwise_kernel_for_multi_outputsILi2EZ4mainEUlffffE_5ArrayIPcLi6EE23TrivialOffsetCalculatorILi4EjES4_ILi2EjEEviT0_T1_T2_T3_
; %bb.0:
	s_load_b32 s2, s[0:1], 0x0
	s_bfe_u32 s3, ttmp6, 0x4000c
	s_clause 0x1
	s_load_b256 s[4:11], s[0:1], 0x8
	s_load_b128 s[12:15], s[0:1], 0x28
	s_add_co_i32 s3, s3, 1
	s_wait_xcnt 0x0
	s_and_b32 s0, ttmp6, 15
	s_mul_i32 s1, ttmp9, s3
	s_getreg_b32 s3, hwreg(HW_REG_IB_STS2, 6, 4)
	s_add_co_i32 s0, s0, s1
	s_cmp_eq_u32 s3, 0
	v_add_nc_u32_e32 v1, 0x80, v0
	s_cselect_b32 s0, ttmp9, s0
	s_delay_alu instid0(SALU_CYCLE_1) | instskip(SKIP_2) | instid1(SALU_CYCLE_1)
	s_lshl_b32 s1, s0, 9
	s_wait_kmcnt 0x0
	s_sub_co_i32 s2, s2, s1
	v_cmp_le_i32_e64 s0, s2, v0
	v_cmp_gt_i32_e32 vcc_lo, s2, v0
	s_and_saveexec_b32 s3, s0
	s_delay_alu instid0(SALU_CYCLE_1)
	s_xor_b32 s0, exec_lo, s3
; %bb.1:
	v_add_nc_u32_e32 v1, 0x80, v0
; %bb.2:
	s_or_saveexec_b32 s3, s0
	v_dual_mov_b32 v8, 0 :: v_dual_add_nc_u32 v6, s1, v0
	v_dual_mov_b32 v9, 0 :: v_dual_mov_b32 v7, 0
	v_dual_mov_b32 v13, 0 :: v_dual_mov_b32 v12, 0
	;; [unrolled: 1-line block ×7, first 2 shown]
	v_mov_b32_e32 v5, 0
	s_xor_b32 exec_lo, exec_lo, s3
	s_cbranch_execz .LBB0_10
; %bb.3:
	s_clause 0x3
	global_load_b32 v2, v6, s[8:9] scale_offset
	global_load_b32 v3, v6, s[10:11] scale_offset
	;; [unrolled: 1-line block ×4, first 2 shown]
	v_dual_mov_b32 v18, 0 :: v_dual_mov_b32 v17, 0
	v_dual_mov_b32 v16, 0 :: v_dual_mov_b32 v15, 0
	v_dual_mov_b32 v14, 0 :: v_dual_mov_b32 v10, 0
	v_dual_mov_b32 v11, 0 :: v_dual_mov_b32 v12, 0
	v_dual_mov_b32 v13, 0 :: v_dual_mov_b32 v7, 0
	v_dual_mov_b32 v9, 0 :: v_dual_mov_b32 v8, 0
	s_mov_b32 s16, exec_lo
	s_wait_xcnt 0x0
	v_cmpx_gt_u32_e64 s2, v1
	s_cbranch_execz .LBB0_9
; %bb.4:
	v_dual_mov_b32 v14, 0 :: v_dual_add_nc_u32 v7, s1, v1
	v_dual_mov_b32 v10, 0 :: v_dual_add_nc_u32 v19, 0x100, v0
	v_dual_mov_b32 v11, 0 :: v_dual_mov_b32 v12, 0
	s_clause 0x3
	global_load_b32 v15, v7, s[8:9] scale_offset
	global_load_b32 v16, v7, s[10:11] scale_offset
	;; [unrolled: 1-line block ×4, first 2 shown]
	s_wait_xcnt 0x0
	v_dual_mov_b32 v13, 0 :: v_dual_mov_b32 v7, 0
	v_dual_mov_b32 v9, 0 :: v_dual_mov_b32 v8, 0
	s_mov_b32 s17, exec_lo
	v_cmpx_gt_u32_e64 s2, v19
	s_cbranch_execz .LBB0_8
; %bb.5:
	v_dual_add_nc_u32 v7, s1, v19 :: v_dual_mov_b32 v13, 0
	v_dual_mov_b32 v8, 0 :: v_dual_add_nc_u32 v19, 0x180, v0
	s_mov_b32 s18, exec_lo
	s_clause 0x3
	global_load_b32 v12, v7, s[8:9] scale_offset
	global_load_b32 v11, v7, s[10:11] scale_offset
	;; [unrolled: 1-line block ×4, first 2 shown]
	s_wait_xcnt 0x0
	v_dual_mov_b32 v7, 0 :: v_dual_mov_b32 v9, 0
	v_cmpx_gt_u32_e64 s2, v19
	s_cbranch_execz .LBB0_7
; %bb.6:
	v_add_nc_u32_e32 v19, s1, v19
	s_clause 0x3
	global_load_b32 v8, v19, s[8:9] scale_offset
	global_load_b32 v9, v19, s[10:11] scale_offset
	;; [unrolled: 1-line block ×4, first 2 shown]
.LBB0_7:
	s_wait_xcnt 0x0
	s_or_b32 exec_lo, exec_lo, s18
.LBB0_8:
	s_delay_alu instid0(SALU_CYCLE_1)
	s_or_b32 exec_lo, exec_lo, s17
.LBB0_9:
	s_delay_alu instid0(SALU_CYCLE_1)
	s_or_b32 exec_lo, exec_lo, s16
.LBB0_10:
	s_delay_alu instid0(SALU_CYCLE_1)
	s_or_b32 exec_lo, exec_lo, s3
	s_and_saveexec_b32 s0, vcc_lo
	s_cbranch_execz .LBB0_15
; %bb.11:
	s_wait_loadcnt 0x2
	v_dual_mov_b32 v20, v3 :: v_dual_mov_b32 v21, v2
	s_wait_loadcnt 0x0
	v_pk_mul_f32 v[2:3], v[2:3], v[4:5]
	v_cmp_gt_u32_e32 vcc_lo, s2, v1
	s_delay_alu instid0(VALU_DEP_3) | instskip(NEXT) | instid1(VALU_DEP_1)
	v_pk_mul_f32 v[4:5], v[20:21], v[4:5]
	v_dual_sub_f32 v2, v2, v3 :: v_dual_add_f32 v3, v4, v5
	s_clause 0x1
	global_store_b32 v6, v2, s[4:5] scale_offset
	global_store_b32 v6, v3, s[6:7] scale_offset
	s_wait_xcnt 0x0
	s_and_b32 exec_lo, exec_lo, vcc_lo
	s_cbranch_execz .LBB0_15
; %bb.12:
	v_dual_mul_f32 v3, v16, v18 :: v_dual_mul_f32 v4, v15, v18
	v_add_nc_u32_e32 v2, 0x100, v0
	v_add_nc_u32_e32 v1, s1, v1
	s_delay_alu instid0(VALU_DEP_3) | instskip(NEXT) | instid1(VALU_DEP_3)
	v_dual_fma_f32 v3, v15, v17, -v3 :: v_dual_fmac_f32 v4, v16, v17
	v_cmp_gt_u32_e32 vcc_lo, s2, v2
	s_clause 0x1
	global_store_b32 v1, v3, s[4:5] scale_offset
	global_store_b32 v1, v4, s[6:7] scale_offset
	s_wait_xcnt 0x0
	s_and_b32 exec_lo, exec_lo, vcc_lo
	s_cbranch_execz .LBB0_15
; %bb.13:
	v_dual_mul_f32 v1, v11, v14 :: v_dual_mul_f32 v3, v12, v14
	v_add_nc_u32_e32 v0, 0x180, v0
	v_add_nc_u32_e32 v2, s1, v2
	s_delay_alu instid0(VALU_DEP_3) | instskip(NEXT) | instid1(VALU_DEP_3)
	v_dual_fma_f32 v1, v12, v10, -v1 :: v_dual_fmac_f32 v3, v11, v10
	v_cmp_gt_u32_e32 vcc_lo, s2, v0
	s_clause 0x1
	global_store_b32 v2, v1, s[4:5] scale_offset
	global_store_b32 v2, v3, s[6:7] scale_offset
	s_wait_xcnt 0x0
	s_and_b32 exec_lo, exec_lo, vcc_lo
	s_cbranch_execz .LBB0_15
; %bb.14:
	v_dual_mul_f32 v1, v9, v13 :: v_dual_mul_f32 v2, v8, v13
	s_delay_alu instid0(VALU_DEP_1) | instskip(NEXT) | instid1(VALU_DEP_2)
	v_dual_add_nc_u32 v0, s1, v0 :: v_dual_fma_f32 v1, v8, v7, -v1
	v_fmac_f32_e32 v2, v9, v7
	s_clause 0x1
	global_store_b32 v0, v1, s[4:5] scale_offset
	global_store_b32 v0, v2, s[6:7] scale_offset
.LBB0_15:
	s_endpgm
	.section	.rodata,"a",@progbits
	.p2align	6, 0x0
	.amdhsa_kernel _Z45unrolled_elementwise_kernel_for_multi_outputsILi2EZ4mainEUlffffE_5ArrayIPcLi6EE23TrivialOffsetCalculatorILi4EjES4_ILi2EjEEviT0_T1_T2_T3_
		.amdhsa_group_segment_fixed_size 0
		.amdhsa_private_segment_fixed_size 0
		.amdhsa_kernarg_size 60
		.amdhsa_user_sgpr_count 2
		.amdhsa_user_sgpr_dispatch_ptr 0
		.amdhsa_user_sgpr_queue_ptr 0
		.amdhsa_user_sgpr_kernarg_segment_ptr 1
		.amdhsa_user_sgpr_dispatch_id 0
		.amdhsa_user_sgpr_kernarg_preload_length 0
		.amdhsa_user_sgpr_kernarg_preload_offset 0
		.amdhsa_user_sgpr_private_segment_size 0
		.amdhsa_wavefront_size32 1
		.amdhsa_uses_dynamic_stack 0
		.amdhsa_enable_private_segment 0
		.amdhsa_system_sgpr_workgroup_id_x 1
		.amdhsa_system_sgpr_workgroup_id_y 0
		.amdhsa_system_sgpr_workgroup_id_z 0
		.amdhsa_system_sgpr_workgroup_info 0
		.amdhsa_system_vgpr_workitem_id 0
		.amdhsa_next_free_vgpr 22
		.amdhsa_next_free_sgpr 19
		.amdhsa_named_barrier_count 0
		.amdhsa_reserve_vcc 1
		.amdhsa_float_round_mode_32 0
		.amdhsa_float_round_mode_16_64 0
		.amdhsa_float_denorm_mode_32 3
		.amdhsa_float_denorm_mode_16_64 3
		.amdhsa_fp16_overflow 0
		.amdhsa_memory_ordered 1
		.amdhsa_forward_progress 1
		.amdhsa_inst_pref_size 8
		.amdhsa_round_robin_scheduling 0
		.amdhsa_exception_fp_ieee_invalid_op 0
		.amdhsa_exception_fp_denorm_src 0
		.amdhsa_exception_fp_ieee_div_zero 0
		.amdhsa_exception_fp_ieee_overflow 0
		.amdhsa_exception_fp_ieee_underflow 0
		.amdhsa_exception_fp_ieee_inexact 0
		.amdhsa_exception_int_div_zero 0
	.end_amdhsa_kernel
	.section	.text._Z45unrolled_elementwise_kernel_for_multi_outputsILi2EZ4mainEUlffffE_5ArrayIPcLi6EE23TrivialOffsetCalculatorILi4EjES4_ILi2EjEEviT0_T1_T2_T3_,"axG",@progbits,_Z45unrolled_elementwise_kernel_for_multi_outputsILi2EZ4mainEUlffffE_5ArrayIPcLi6EE23TrivialOffsetCalculatorILi4EjES4_ILi2EjEEviT0_T1_T2_T3_,comdat
.Lfunc_end0:
	.size	_Z45unrolled_elementwise_kernel_for_multi_outputsILi2EZ4mainEUlffffE_5ArrayIPcLi6EE23TrivialOffsetCalculatorILi4EjES4_ILi2EjEEviT0_T1_T2_T3_, .Lfunc_end0-_Z45unrolled_elementwise_kernel_for_multi_outputsILi2EZ4mainEUlffffE_5ArrayIPcLi6EE23TrivialOffsetCalculatorILi4EjES4_ILi2EjEEviT0_T1_T2_T3_
                                        ; -- End function
	.set _Z45unrolled_elementwise_kernel_for_multi_outputsILi2EZ4mainEUlffffE_5ArrayIPcLi6EE23TrivialOffsetCalculatorILi4EjES4_ILi2EjEEviT0_T1_T2_T3_.num_vgpr, 22
	.set _Z45unrolled_elementwise_kernel_for_multi_outputsILi2EZ4mainEUlffffE_5ArrayIPcLi6EE23TrivialOffsetCalculatorILi4EjES4_ILi2EjEEviT0_T1_T2_T3_.num_agpr, 0
	.set _Z45unrolled_elementwise_kernel_for_multi_outputsILi2EZ4mainEUlffffE_5ArrayIPcLi6EE23TrivialOffsetCalculatorILi4EjES4_ILi2EjEEviT0_T1_T2_T3_.numbered_sgpr, 19
	.set _Z45unrolled_elementwise_kernel_for_multi_outputsILi2EZ4mainEUlffffE_5ArrayIPcLi6EE23TrivialOffsetCalculatorILi4EjES4_ILi2EjEEviT0_T1_T2_T3_.num_named_barrier, 0
	.set _Z45unrolled_elementwise_kernel_for_multi_outputsILi2EZ4mainEUlffffE_5ArrayIPcLi6EE23TrivialOffsetCalculatorILi4EjES4_ILi2EjEEviT0_T1_T2_T3_.private_seg_size, 0
	.set _Z45unrolled_elementwise_kernel_for_multi_outputsILi2EZ4mainEUlffffE_5ArrayIPcLi6EE23TrivialOffsetCalculatorILi4EjES4_ILi2EjEEviT0_T1_T2_T3_.uses_vcc, 1
	.set _Z45unrolled_elementwise_kernel_for_multi_outputsILi2EZ4mainEUlffffE_5ArrayIPcLi6EE23TrivialOffsetCalculatorILi4EjES4_ILi2EjEEviT0_T1_T2_T3_.uses_flat_scratch, 0
	.set _Z45unrolled_elementwise_kernel_for_multi_outputsILi2EZ4mainEUlffffE_5ArrayIPcLi6EE23TrivialOffsetCalculatorILi4EjES4_ILi2EjEEviT0_T1_T2_T3_.has_dyn_sized_stack, 0
	.set _Z45unrolled_elementwise_kernel_for_multi_outputsILi2EZ4mainEUlffffE_5ArrayIPcLi6EE23TrivialOffsetCalculatorILi4EjES4_ILi2EjEEviT0_T1_T2_T3_.has_recursion, 0
	.set _Z45unrolled_elementwise_kernel_for_multi_outputsILi2EZ4mainEUlffffE_5ArrayIPcLi6EE23TrivialOffsetCalculatorILi4EjES4_ILi2EjEEviT0_T1_T2_T3_.has_indirect_call, 0
	.section	.AMDGPU.csdata,"",@progbits
; Kernel info:
; codeLenInByte = 980
; TotalNumSgprs: 21
; NumVgprs: 22
; ScratchSize: 0
; MemoryBound: 0
; FloatMode: 240
; IeeeMode: 1
; LDSByteSize: 0 bytes/workgroup (compile time only)
; SGPRBlocks: 0
; VGPRBlocks: 1
; NumSGPRsForWavesPerEU: 21
; NumVGPRsForWavesPerEU: 22
; NamedBarCnt: 0
; Occupancy: 16
; WaveLimiterHint : 0
; COMPUTE_PGM_RSRC2:SCRATCH_EN: 0
; COMPUTE_PGM_RSRC2:USER_SGPR: 2
; COMPUTE_PGM_RSRC2:TRAP_HANDLER: 0
; COMPUTE_PGM_RSRC2:TGID_X_EN: 1
; COMPUTE_PGM_RSRC2:TGID_Y_EN: 0
; COMPUTE_PGM_RSRC2:TGID_Z_EN: 0
; COMPUTE_PGM_RSRC2:TIDIG_COMP_CNT: 0
	.section	.AMDGPU.gpr_maximums,"",@progbits
	.set amdgpu.max_num_vgpr, 0
	.set amdgpu.max_num_agpr, 0
	.set amdgpu.max_num_sgpr, 0
	.section	.AMDGPU.csdata,"",@progbits
	.type	__hip_cuid_d5df4ff19dbbe00b,@object ; @__hip_cuid_d5df4ff19dbbe00b
	.section	.bss,"aw",@nobits
	.globl	__hip_cuid_d5df4ff19dbbe00b
__hip_cuid_d5df4ff19dbbe00b:
	.byte	0                               ; 0x0
	.size	__hip_cuid_d5df4ff19dbbe00b, 1

	.ident	"AMD clang version 22.0.0git (https://github.com/RadeonOpenCompute/llvm-project roc-7.2.4 26084 f58b06dce1f9c15707c5f808fd002e18c2accf7e)"
	.section	".note.GNU-stack","",@progbits
	.addrsig
	.addrsig_sym __hip_cuid_d5df4ff19dbbe00b
	.amdgpu_metadata
---
amdhsa.kernels:
  - .args:
      - .offset:         0
        .size:           4
        .value_kind:     by_value
      - .offset:         4
        .size:           1
        .value_kind:     by_value
      - .offset:         8
        .size:           48
        .value_kind:     by_value
      - .offset:         56
        .size:           1
        .value_kind:     by_value
      - .offset:         57
        .size:           1
        .value_kind:     by_value
    .group_segment_fixed_size: 0
    .kernarg_segment_align: 8
    .kernarg_segment_size: 60
    .language:       OpenCL C
    .language_version:
      - 2
      - 0
    .max_flat_workgroup_size: 1024
    .name:           _Z45unrolled_elementwise_kernel_for_multi_outputsILi2EZ4mainEUlffffE_5ArrayIPcLi6EE23TrivialOffsetCalculatorILi4EjES4_ILi2EjEEviT0_T1_T2_T3_
    .private_segment_fixed_size: 0
    .sgpr_count:     21
    .sgpr_spill_count: 0
    .symbol:         _Z45unrolled_elementwise_kernel_for_multi_outputsILi2EZ4mainEUlffffE_5ArrayIPcLi6EE23TrivialOffsetCalculatorILi4EjES4_ILi2EjEEviT0_T1_T2_T3_.kd
    .uniform_work_group_size: 1
    .uses_dynamic_stack: false
    .vgpr_count:     22
    .vgpr_spill_count: 0
    .wavefront_size: 32
amdhsa.target:   amdgcn-amd-amdhsa--gfx1250
amdhsa.version:
  - 1
  - 2
...

	.end_amdgpu_metadata
